;; amdgpu-corpus repo=ROCm/rocFFT kind=compiled arch=gfx1030 opt=O3
	.text
	.amdgcn_target "amdgcn-amd-amdhsa--gfx1030"
	.amdhsa_code_object_version 6
	.protected	fft_rtc_back_len561_factors_17_3_11_wgs_255_tpt_51_halfLds_half_ip_CI_unitstride_sbrr_dirReg ; -- Begin function fft_rtc_back_len561_factors_17_3_11_wgs_255_tpt_51_halfLds_half_ip_CI_unitstride_sbrr_dirReg
	.globl	fft_rtc_back_len561_factors_17_3_11_wgs_255_tpt_51_halfLds_half_ip_CI_unitstride_sbrr_dirReg
	.p2align	8
	.type	fft_rtc_back_len561_factors_17_3_11_wgs_255_tpt_51_halfLds_half_ip_CI_unitstride_sbrr_dirReg,@function
fft_rtc_back_len561_factors_17_3_11_wgs_255_tpt_51_halfLds_half_ip_CI_unitstride_sbrr_dirReg: ; @fft_rtc_back_len561_factors_17_3_11_wgs_255_tpt_51_halfLds_half_ip_CI_unitstride_sbrr_dirReg
; %bb.0:
	s_load_dwordx4 s[8:11], s[4:5], 0x0
	v_mul_u32_u24_e32 v1, 0x506, v0
	s_clause 0x1
	s_load_dwordx2 s[2:3], s[4:5], 0x50
	s_load_dwordx2 s[12:13], s[4:5], 0x18
	v_mov_b32_e32 v3, 0
	v_lshrrev_b32_e32 v1, 16, v1
	v_mad_u64_u32 v[6:7], null, s6, 5, v[1:2]
	v_mov_b32_e32 v7, v3
	v_mov_b32_e32 v1, 0
	;; [unrolled: 1-line block ×5, first 2 shown]
	s_waitcnt lgkmcnt(0)
	v_cmp_lt_u64_e64 s0, s[10:11], 2
	s_and_b32 vcc_lo, exec_lo, s0
	s_cbranch_vccnz .LBB0_8
; %bb.1:
	s_load_dwordx2 s[0:1], s[4:5], 0x10
	v_mov_b32_e32 v1, 0
	v_mov_b32_e32 v8, v7
	s_add_u32 s6, s12, 8
	v_mov_b32_e32 v2, 0
	v_mov_b32_e32 v7, v6
	s_addc_u32 s7, s13, 0
	s_mov_b64 s[16:17], 1
	s_waitcnt lgkmcnt(0)
	s_add_u32 s14, s0, 8
	s_addc_u32 s15, s1, 0
.LBB0_2:                                ; =>This Inner Loop Header: Depth=1
	s_load_dwordx2 s[18:19], s[14:15], 0x0
                                        ; implicit-def: $vgpr9_vgpr10
	s_mov_b32 s0, exec_lo
	s_waitcnt lgkmcnt(0)
	v_or_b32_e32 v4, s19, v8
	v_cmpx_ne_u64_e32 0, v[3:4]
	s_xor_b32 s1, exec_lo, s0
	s_cbranch_execz .LBB0_4
; %bb.3:                                ;   in Loop: Header=BB0_2 Depth=1
	v_cvt_f32_u32_e32 v4, s18
	v_cvt_f32_u32_e32 v5, s19
	s_sub_u32 s0, 0, s18
	s_subb_u32 s20, 0, s19
	v_fmac_f32_e32 v4, 0x4f800000, v5
	v_rcp_f32_e32 v4, v4
	v_mul_f32_e32 v4, 0x5f7ffffc, v4
	v_mul_f32_e32 v5, 0x2f800000, v4
	v_trunc_f32_e32 v5, v5
	v_fmac_f32_e32 v4, 0xcf800000, v5
	v_cvt_u32_f32_e32 v5, v5
	v_cvt_u32_f32_e32 v4, v4
	v_mul_lo_u32 v9, s0, v5
	v_mul_hi_u32 v10, s0, v4
	v_mul_lo_u32 v11, s20, v4
	v_add_nc_u32_e32 v9, v10, v9
	v_mul_lo_u32 v10, s0, v4
	v_add_nc_u32_e32 v9, v9, v11
	v_mul_hi_u32 v11, v4, v10
	v_mul_lo_u32 v12, v4, v9
	v_mul_hi_u32 v13, v4, v9
	v_mul_hi_u32 v14, v5, v10
	v_mul_lo_u32 v10, v5, v10
	v_mul_hi_u32 v15, v5, v9
	v_mul_lo_u32 v9, v5, v9
	v_add_co_u32 v11, vcc_lo, v11, v12
	v_add_co_ci_u32_e32 v12, vcc_lo, 0, v13, vcc_lo
	v_add_co_u32 v10, vcc_lo, v11, v10
	v_add_co_ci_u32_e32 v10, vcc_lo, v12, v14, vcc_lo
	v_add_co_ci_u32_e32 v11, vcc_lo, 0, v15, vcc_lo
	v_add_co_u32 v9, vcc_lo, v10, v9
	v_add_co_ci_u32_e32 v10, vcc_lo, 0, v11, vcc_lo
	v_add_co_u32 v4, vcc_lo, v4, v9
	v_add_co_ci_u32_e32 v5, vcc_lo, v5, v10, vcc_lo
	v_mul_hi_u32 v9, s0, v4
	v_mul_lo_u32 v11, s20, v4
	v_mul_lo_u32 v10, s0, v5
	v_add_nc_u32_e32 v9, v9, v10
	v_mul_lo_u32 v10, s0, v4
	v_add_nc_u32_e32 v9, v9, v11
	v_mul_hi_u32 v11, v4, v10
	v_mul_lo_u32 v12, v4, v9
	v_mul_hi_u32 v13, v4, v9
	v_mul_hi_u32 v14, v5, v10
	v_mul_lo_u32 v10, v5, v10
	v_mul_hi_u32 v15, v5, v9
	v_mul_lo_u32 v9, v5, v9
	v_add_co_u32 v11, vcc_lo, v11, v12
	v_add_co_ci_u32_e32 v12, vcc_lo, 0, v13, vcc_lo
	v_add_co_u32 v10, vcc_lo, v11, v10
	v_add_co_ci_u32_e32 v10, vcc_lo, v12, v14, vcc_lo
	v_add_co_ci_u32_e32 v11, vcc_lo, 0, v15, vcc_lo
	v_add_co_u32 v9, vcc_lo, v10, v9
	v_add_co_ci_u32_e32 v10, vcc_lo, 0, v11, vcc_lo
	v_add_co_u32 v9, vcc_lo, v4, v9
	v_add_co_ci_u32_e32 v11, vcc_lo, v5, v10, vcc_lo
	v_mul_hi_u32 v13, v7, v9
	v_mad_u64_u32 v[9:10], null, v8, v9, 0
	v_mad_u64_u32 v[4:5], null, v7, v11, 0
	v_mad_u64_u32 v[11:12], null, v8, v11, 0
	v_add_co_u32 v4, vcc_lo, v13, v4
	v_add_co_ci_u32_e32 v5, vcc_lo, 0, v5, vcc_lo
	v_add_co_u32 v4, vcc_lo, v4, v9
	v_add_co_ci_u32_e32 v4, vcc_lo, v5, v10, vcc_lo
	v_add_co_ci_u32_e32 v5, vcc_lo, 0, v12, vcc_lo
	v_add_co_u32 v9, vcc_lo, v4, v11
	v_add_co_ci_u32_e32 v10, vcc_lo, 0, v5, vcc_lo
	v_mul_lo_u32 v11, s19, v9
	v_mad_u64_u32 v[4:5], null, s18, v9, 0
	v_mul_lo_u32 v12, s18, v10
	v_sub_co_u32 v4, vcc_lo, v7, v4
	v_add3_u32 v5, v5, v12, v11
	v_sub_nc_u32_e32 v11, v8, v5
	v_subrev_co_ci_u32_e64 v11, s0, s19, v11, vcc_lo
	v_add_co_u32 v12, s0, v9, 2
	v_add_co_ci_u32_e64 v13, s0, 0, v10, s0
	v_sub_co_u32 v14, s0, v4, s18
	v_sub_co_ci_u32_e32 v5, vcc_lo, v8, v5, vcc_lo
	v_subrev_co_ci_u32_e64 v11, s0, 0, v11, s0
	v_cmp_le_u32_e32 vcc_lo, s18, v14
	v_cmp_eq_u32_e64 s0, s19, v5
	v_cndmask_b32_e64 v14, 0, -1, vcc_lo
	v_cmp_le_u32_e32 vcc_lo, s19, v11
	v_cndmask_b32_e64 v15, 0, -1, vcc_lo
	v_cmp_le_u32_e32 vcc_lo, s18, v4
	;; [unrolled: 2-line block ×3, first 2 shown]
	v_cndmask_b32_e64 v16, 0, -1, vcc_lo
	v_cmp_eq_u32_e32 vcc_lo, s19, v11
	v_cndmask_b32_e64 v4, v16, v4, s0
	v_cndmask_b32_e32 v11, v15, v14, vcc_lo
	v_add_co_u32 v14, vcc_lo, v9, 1
	v_add_co_ci_u32_e32 v15, vcc_lo, 0, v10, vcc_lo
	v_cmp_ne_u32_e32 vcc_lo, 0, v11
	v_cndmask_b32_e32 v5, v15, v13, vcc_lo
	v_cndmask_b32_e32 v11, v14, v12, vcc_lo
	v_cmp_ne_u32_e32 vcc_lo, 0, v4
	v_cndmask_b32_e32 v10, v10, v5, vcc_lo
	v_cndmask_b32_e32 v9, v9, v11, vcc_lo
.LBB0_4:                                ;   in Loop: Header=BB0_2 Depth=1
	s_andn2_saveexec_b32 s0, s1
	s_cbranch_execz .LBB0_6
; %bb.5:                                ;   in Loop: Header=BB0_2 Depth=1
	v_cvt_f32_u32_e32 v4, s18
	s_sub_i32 s1, 0, s18
	v_rcp_iflag_f32_e32 v4, v4
	v_mul_f32_e32 v4, 0x4f7ffffe, v4
	v_cvt_u32_f32_e32 v4, v4
	v_mul_lo_u32 v5, s1, v4
	v_mul_hi_u32 v5, v4, v5
	v_add_nc_u32_e32 v4, v4, v5
	v_mul_hi_u32 v4, v7, v4
	v_mul_lo_u32 v5, v4, s18
	v_add_nc_u32_e32 v9, 1, v4
	v_sub_nc_u32_e32 v5, v7, v5
	v_subrev_nc_u32_e32 v10, s18, v5
	v_cmp_le_u32_e32 vcc_lo, s18, v5
	v_cndmask_b32_e32 v5, v5, v10, vcc_lo
	v_cndmask_b32_e32 v4, v4, v9, vcc_lo
	v_mov_b32_e32 v10, v3
	v_cmp_le_u32_e32 vcc_lo, s18, v5
	v_add_nc_u32_e32 v9, 1, v4
	v_cndmask_b32_e32 v9, v4, v9, vcc_lo
.LBB0_6:                                ;   in Loop: Header=BB0_2 Depth=1
	s_or_b32 exec_lo, exec_lo, s0
	s_load_dwordx2 s[0:1], s[6:7], 0x0
	v_mul_lo_u32 v11, v10, s18
	v_mul_lo_u32 v12, v9, s19
	v_mad_u64_u32 v[4:5], null, v9, s18, 0
	s_add_u32 s16, s16, 1
	s_addc_u32 s17, s17, 0
	s_add_u32 s6, s6, 8
	s_addc_u32 s7, s7, 0
	;; [unrolled: 2-line block ×3, first 2 shown]
	v_add3_u32 v5, v5, v12, v11
	v_sub_co_u32 v4, vcc_lo, v7, v4
	v_sub_co_ci_u32_e32 v5, vcc_lo, v8, v5, vcc_lo
	s_waitcnt lgkmcnt(0)
	v_mul_lo_u32 v7, s1, v4
	v_mul_lo_u32 v5, s0, v5
	v_mad_u64_u32 v[1:2], null, s0, v4, v[1:2]
	v_cmp_ge_u64_e64 s0, s[16:17], s[10:11]
	s_and_b32 vcc_lo, exec_lo, s0
	v_add3_u32 v2, v7, v2, v5
	s_cbranch_vccnz .LBB0_8
; %bb.7:                                ;   in Loop: Header=BB0_2 Depth=1
	v_mov_b32_e32 v7, v9
	v_mov_b32_e32 v8, v10
	s_branch .LBB0_2
.LBB0_8:
	s_lshl_b64 s[0:1], s[10:11], 3
	v_mul_hi_u32 v3, 0x5050506, v0
	s_add_u32 s0, s12, s0
	s_addc_u32 s1, s13, s1
	v_mov_b32_e32 v11, 0
	s_load_dwordx2 s[0:1], s[0:1], 0x0
	s_load_dwordx2 s[4:5], s[4:5], 0x20
                                        ; implicit-def: $vgpr25
                                        ; implicit-def: $vgpr35
                                        ; implicit-def: $vgpr24
                                        ; implicit-def: $vgpr34
                                        ; implicit-def: $vgpr23
                                        ; implicit-def: $vgpr33
                                        ; implicit-def: $vgpr22
                                        ; implicit-def: $vgpr32
                                        ; implicit-def: $vgpr21
                                        ; implicit-def: $vgpr28
                                        ; implicit-def: $vgpr20
                                        ; implicit-def: $vgpr27
                                        ; implicit-def: $vgpr19
                                        ; implicit-def: $vgpr26
                                        ; implicit-def: $vgpr18
                                        ; implicit-def: $vgpr29
                                        ; implicit-def: $vgpr41
                                        ; implicit-def: $vgpr40
                                        ; implicit-def: $vgpr12
                                        ; implicit-def: $vgpr39
                                        ; implicit-def: $vgpr13
                                        ; implicit-def: $vgpr38
                                        ; implicit-def: $vgpr14
                                        ; implicit-def: $vgpr37
                                        ; implicit-def: $vgpr15
                                        ; implicit-def: $vgpr36
                                        ; implicit-def: $vgpr16
                                        ; implicit-def: $vgpr31
                                        ; implicit-def: $vgpr17
                                        ; implicit-def: $vgpr30
	v_mul_u32_u24_e32 v4, 51, v3
	v_mov_b32_e32 v3, 0
	v_sub_nc_u32_e32 v4, v0, v4
	s_waitcnt lgkmcnt(0)
	v_mul_lo_u32 v5, s0, v10
	v_mul_lo_u32 v7, s1, v9
	v_mad_u64_u32 v[1:2], null, s0, v9, v[1:2]
	v_cmp_gt_u64_e32 vcc_lo, s[4:5], v[9:10]
                                        ; implicit-def: $vgpr9
                                        ; implicit-def: $vgpr10
	v_add3_u32 v2, v7, v2, v5
	v_mov_b32_e32 v7, 0
	s_and_saveexec_b32 s1, vcc_lo
	s_cbranch_execz .LBB0_12
; %bb.9:
	v_cmp_gt_u32_e64 s0, 33, v4
	v_mov_b32_e32 v7, 0
	v_mov_b32_e32 v11, 0
                                        ; implicit-def: $vgpr30
                                        ; implicit-def: $vgpr17
                                        ; implicit-def: $vgpr31
                                        ; implicit-def: $vgpr16
                                        ; implicit-def: $vgpr36
                                        ; implicit-def: $vgpr15
                                        ; implicit-def: $vgpr37
                                        ; implicit-def: $vgpr14
                                        ; implicit-def: $vgpr38
                                        ; implicit-def: $vgpr13
                                        ; implicit-def: $vgpr39
                                        ; implicit-def: $vgpr12
                                        ; implicit-def: $vgpr40
                                        ; implicit-def: $vgpr10
                                        ; implicit-def: $vgpr41
                                        ; implicit-def: $vgpr9
                                        ; implicit-def: $vgpr29
                                        ; implicit-def: $vgpr18
                                        ; implicit-def: $vgpr26
                                        ; implicit-def: $vgpr19
                                        ; implicit-def: $vgpr27
                                        ; implicit-def: $vgpr20
                                        ; implicit-def: $vgpr28
                                        ; implicit-def: $vgpr21
                                        ; implicit-def: $vgpr32
                                        ; implicit-def: $vgpr22
                                        ; implicit-def: $vgpr33
                                        ; implicit-def: $vgpr23
                                        ; implicit-def: $vgpr34
                                        ; implicit-def: $vgpr24
                                        ; implicit-def: $vgpr35
                                        ; implicit-def: $vgpr25
	s_and_saveexec_b32 s4, s0
	s_cbranch_execz .LBB0_11
; %bb.10:
	v_mov_b32_e32 v5, 0
	v_lshlrev_b64 v[7:8], 2, v[1:2]
	v_lshlrev_b64 v[9:10], 2, v[4:5]
	v_add_co_u32 v0, s0, s2, v7
	v_add_co_ci_u32_e64 v3, s0, s3, v8, s0
	v_add_co_u32 v8, s0, v0, v9
	v_add_co_ci_u32_e64 v9, s0, v3, v10, s0
	s_clause 0x7
	global_load_dword v7, v[8:9], off
	global_load_dword v35, v[8:9], off offset:132
	global_load_dword v34, v[8:9], off offset:264
	;; [unrolled: 1-line block ×7, first 2 shown]
	v_add_co_u32 v10, s0, 0x800, v8
	v_add_co_ci_u32_e64 v11, s0, 0, v9, s0
	s_clause 0x8
	global_load_dword v29, v[8:9], off offset:1056
	global_load_dword v30, v[8:9], off offset:1188
	;; [unrolled: 1-line block ×9, first 2 shown]
	s_waitcnt vmcnt(16)
	v_lshrrev_b32_e32 v11, 16, v7
	s_waitcnt vmcnt(15)
	v_lshrrev_b32_e32 v25, 16, v35
	;; [unrolled: 2-line block ×17, first 2 shown]
.LBB0_11:
	s_or_b32 exec_lo, exec_lo, s4
	v_mov_b32_e32 v3, v4
.LBB0_12:
	s_or_b32 exec_lo, exec_lo, s1
	v_sub_f16_e32 v73, v25, v9
	v_add_f16_e32 v60, v35, v41
	v_sub_f16_e32 v72, v24, v10
	v_add_f16_e32 v54, v34, v40
	v_sub_f16_e32 v70, v23, v12
	v_mul_f16_e32 v58, 0xb1e1, v73
	v_pk_mul_f16 v66, 0xba62b836, v73 op_sel_hi:[1,0]
	v_mul_f16_e32 v62, 0x35c8, v72
	v_add_f16_e32 v48, v33, v39
	v_sub_f16_e32 v69, v22, v13
	v_fma_f16 v5, v60, 0xbbdd, -v58
	v_mul_f16_e32 v55, 0xb836, v70
	v_fma_f16 v8, v54, 0x3b76, -v62
	v_pk_fma_f16 v43, 0xb8d2bacd, v60, v66 op_sel_hi:[1,0,1] neg_lo:[0,0,1] neg_hi:[0,0,1]
	v_pk_mul_f16 v67, 0x3bb23b29, v72 op_sel_hi:[1,0]
	v_add_f16_e32 v5, v7, v5
	v_add_f16_e32 v45, v32, v38
	v_sub_f16_e32 v71, v21, v14
	v_mul_f16_e32 v46, 0x3964, v69
	v_fma_f16 v42, v48, 0xbacd, -v55
	v_add_f16_e32 v5, v5, v8
	v_pk_add_f16 v43, v7, v43 op_sel_hi:[0,1]
	v_pk_fma_f16 v47, 0xb4613722, v54, v67 op_sel_hi:[1,0,1] neg_lo:[0,0,1] neg_hi:[0,0,1]
	v_pk_mul_f16 v68, 0xb5c8bbf7, v70 op_sel_hi:[1,0]
	v_add_f16_e32 v44, v28, v37
	v_fma_f16 v8, v45, 0x39e9, -v46
	v_add_f16_e32 v5, v5, v42
	v_mul_f16_e32 v56, 0xba62, v71
	v_pk_add_f16 v42, v43, v47
	v_pk_fma_f16 v43, 0x3b762de8, v48, v68 op_sel_hi:[1,0,1] neg_lo:[0,0,1] neg_hi:[0,0,1]
	v_pk_mul_f16 v65, 0xb8363a62, v69 op_sel_hi:[1,0]
	v_mul_hi_u32 v0, 0xcccccccd, v6
	v_sub_f16_e32 v51, v20, v15
	v_add_f16_e32 v5, v5, v8
	v_fma_f16 v8, v44, 0xb8d2, -v56
	v_pk_add_f16 v42, v42, v43
	v_pk_fma_f16 v43, 0xbacdb8d2, v45, v65 op_sel_hi:[1,0,1] neg_lo:[0,0,1] neg_hi:[0,0,1]
	v_pk_mul_f16 v64, 0x3bf7b5c8, v71 op_sel_hi:[1,0]
	v_add_f16_e32 v50, v27, v36
	v_lshrrev_b32_e32 v0, 2, v0
	v_mul_f16_e32 v52, 0x3b29, v51
	v_add_f16_e32 v5, v5, v8
	v_sub_f16_e32 v63, v19, v16
	v_pk_add_f16 v8, v42, v43
	v_pk_fma_f16 v42, 0x2de83b76, v44, v64 op_sel_hi:[1,0,1] neg_lo:[0,0,1] neg_hi:[0,0,1]
	v_pk_mul_f16 v59, 0xb964b1e1, v51 op_sel_hi:[1,0]
	v_lshl_add_u32 v0, v0, 2, v0
	v_fma_f16 v43, v50, 0x3722, -v52
	v_add_f16_e32 v53, v26, v31
	v_mul_f16_e32 v47, 0xbbb2, v63
	v_pk_add_f16 v8, v8, v42
	v_pk_fma_f16 v42, 0x39e9bbdd, v50, v59 op_sel_hi:[1,0,1] neg_lo:[0,0,1] neg_hi:[0,0,1]
	v_pk_mul_f16 v49, 0xb1e13964, v63 op_sel_hi:[1,0]
	v_sub_f16_e32 v57, v18, v17
	v_add_f16_e32 v5, v5, v43
	v_fma_f16 v74, v53, 0xb461, -v47
	v_pk_add_f16 v8, v8, v42
	v_pk_fma_f16 v75, 0xbbdd39e9, v53, v49 op_sel_hi:[1,0,1] neg_lo:[0,0,1] neg_hi:[0,0,1]
	v_add_f16_e32 v61, v29, v30
	v_pk_mul_f16 v42, 0x3b29bbb2, v57 op_sel_hi:[1,0]
	v_mul_f16_e32 v43, 0x3bf7, v57
	v_sub_nc_u32_e32 v0, v6, v0
	v_add_f16_e32 v5, v5, v74
	v_pk_add_f16 v6, v8, v75
	v_pk_fma_f16 v8, 0x3722b461, v61, v42 op_sel_hi:[1,0,1] neg_lo:[0,0,1] neg_hi:[0,0,1]
	v_fma_f16 v74, v61, 0x2de8, -v43
	v_mul_u32_u24_e32 v0, 0x231, v0
	v_cmp_gt_u32_e64 s1, 33, v4
	v_pk_add_f16 v8, v6, v8
	v_add_f16_e32 v5, v5, v74
	v_lshlrev_b32_e32 v0, 1, v0
	s_and_saveexec_b32 s0, s1
	s_cbranch_execz .LBB0_14
; %bb.13:
	v_pack_b32_f16 v6, v60, v60
	v_pack_b32_f16 v74, v73, v73
	;; [unrolled: 1-line block ×3, first 2 shown]
	v_perm_b32 v75, v7, v7, 0x5040100
	v_pack_b32_f16 v77, v72, v72
	v_pk_mul_f16 v78, 0x39e93b76, v6
	v_pack_b32_f16 v79, v48, v48
	v_pk_mul_f16 v82, 0x2de839e9, v76
	v_pack_b32_f16 v80, v70, v70
	v_pack_b32_f16 v81, v45, v45
	v_fmamk_f16 v83, v74, 0x35c8, v78
	v_pk_fma_f16 v78, 0xb964b5c8, v74, v78
	v_pk_mul_f16 v86, 0xb8d23722, v79
	v_fmamk_f16 v87, v77, 0x3964, v82
	v_pk_fma_f16 v82, 0xbbf7b964, v77, v82
	v_pack_b32_f16 v84, v69, v69
	v_pk_add_f16 v78, v75, v78
	v_pk_mul_f16 v90, 0xbbdd2de8, v81
	v_fmamk_f16 v91, v80, 0x3b29, v86
	v_pk_fma_f16 v86, 0xba62bb29, v80, v86
	v_pack_b32_f16 v85, v44, v44
	v_pk_add_f16 v78, v78, v82
	v_fmamk_f16 v93, v84, 0x3bf7, v90
	v_pk_fma_f16 v90, 0xb1e1bbf7, v84, v90
	v_add_f16_e32 v83, v7, v83
	v_pack_b32_f16 v88, v71, v71
	v_pk_add_f16 v78, v78, v86
	v_pk_mul_f16 v92, 0xbacdb461, v85
	v_mul_f16_e32 v73, 0xbbb2, v73
	v_add_f16_e32 v83, v83, v87
	v_pk_mul_f16 v99, 0xb8d2bacd, v60 op_sel_hi:[1,0]
	v_pk_add_f16 v78, v78, v90
	v_pk_mul_f16 v90, 0x2de83722, v6
	v_fmamk_f16 v94, v88, 0x3bb2, v92
	v_pk_fma_f16 v92, 0x3836bbb2, v88, v92
	v_mul_f16_e32 v100, 0xb461, v60
	v_pack_b32_f16 v89, v50, v50
	v_pk_fma_f16 v98, 0xbbf7bb29, v74, v90
	v_add_f16_e32 v83, v83, v91
	v_pk_add_f16 v78, v78, v92
	v_bfi_b32 v101, 0xffff, v73, v66
	v_mul_f16_e32 v72, 0x3836, v72
	v_pk_add_f16 v92, v75, v98
	v_pk_mul_f16 v98, 0xbbddb8d2, v76
	v_pk_mul_f16 v102, 0xb4613722, v54 op_sel_hi:[1,0]
	v_mul_f16_e32 v103, 0xbacd, v54
	v_bfi_b32 v104, 0xffff, v100, v99
	v_pack_b32_f16 v87, v51, v51
	v_add_f16_e32 v83, v83, v93
	v_pk_mul_f16 v93, 0xb461b8d2, v89
	v_pk_fma_f16 v105, 0xb1e1ba62, v77, v98
	v_pk_mul_f16 v106, 0xb461bbdd, v79
	v_bfi_b32 v107, 0xffff, v72, v67
	v_bfi_b32 v108, 0xffff, v103, v102
	v_pk_add_f16 v101, v101, v104
	v_pack_b32_f16 v91, v53, v53
	v_add_f16_e32 v82, v83, v94
	v_fmamk_f16 v83, v87, 0x3a62, v93
	v_pk_fma_f16 v93, 0x3bb2ba62, v87, v93
	v_pk_add_f16 v92, v92, v105
	v_pk_fma_f16 v104, 0x3bb231e1, v80, v106
	v_pk_add_f16 v105, v107, v108
	v_pk_add_f16 v101, v75, v101
	v_mul_f16_e32 v70, 0x3964, v70
	v_pk_mul_f16 v107, 0x3b762de8, v48 op_sel_hi:[1,0]
	v_mul_f16_e32 v108, 0x39e9, v48
	v_mul_f16_e32 v60, 0xbbdd, v60
	v_pack_b32_f16 v95, v63, v63
	v_pk_mul_f16 v94, 0x3722bacd, v91
	v_pack_b32_f16 v86, v61, v61
	v_pk_add_f16 v78, v78, v93
	v_pk_add_f16 v92, v92, v104
	;; [unrolled: 1-line block ×3, first 2 shown]
	v_bfi_b32 v101, 0xffff, v70, v68
	v_bfi_b32 v104, 0xffff, v108, v107
	v_pk_mul_f16 v105, 0x3b76b461, v81
	v_mul_f16_e32 v69, 0xbb29, v69
	v_pk_mul_f16 v109, 0xbacdb8d2, v45 op_sel_hi:[1,0]
	v_mul_f16_e32 v110, 0x3722, v45
	v_perm_b32 v58, v58, v66, 0x5040100
	v_mul_f16_e32 v54, 0x3b76, v54
	v_perm_b32 v60, v60, v99, 0x5040100
	v_add_f16_e32 v82, v82, v83
	v_fmamk_f16 v83, v95, 0x3836, v94
	v_pack_b32_f16 v96, v57, v57
	v_pk_mul_f16 v97, 0x3b76bbdd, v86
	v_pk_add_f16 v101, v101, v104
	v_pk_fma_f16 v104, 0x35c83bb2, v84, v105
	v_pk_mul_f16 v111, 0x372239e9, v85
	v_bfi_b32 v112, 0xffff, v69, v65
	v_bfi_b32 v113, 0xffff, v110, v109
	v_perm_b32 v62, v62, v67, 0x5040100
	v_perm_b32 v54, v54, v102, 0x5040100
	v_pk_add_f16 v58, v58, v60
	v_mul_f16_e32 v48, 0xbacd, v48
	v_add_f16_e32 v82, v82, v83
	v_fmamk_f16 v83, v96, 0x31e1, v97
	v_pk_fma_f16 v94, 0x3b29b836, v95, v94
	v_pk_add_f16 v92, v92, v104
	v_pk_fma_f16 v104, 0xbb293964, v88, v111
	v_pk_add_f16 v93, v93, v101
	v_pk_add_f16 v101, v112, v113
	;; [unrolled: 1-line block ×4, first 2 shown]
	v_perm_b32 v55, v55, v68, 0x5040100
	v_perm_b32 v48, v48, v107, 0x5040100
	v_mul_f16_e32 v45, 0x39e9, v45
	v_add_f16_e32 v82, v82, v83
	v_pk_add_f16 v78, v78, v94
	v_pk_add_f16 v83, v92, v104
	v_mul_f16_e32 v71, 0xb1e1, v71
	v_pk_add_f16 v92, v93, v101
	v_pk_mul_f16 v93, 0x2de83b76, v44 op_sel_hi:[1,0]
	v_mul_f16_e32 v94, 0xbbdd, v44
	v_pk_add_f16 v54, v58, v54
	v_pk_add_f16 v48, v55, v48
	v_perm_b32 v46, v46, v65, 0x5040100
	v_perm_b32 v45, v45, v109, 0x5040100
	v_mul_f16_e32 v44, 0xb8d2, v44
	v_bfi_b32 v101, 0xffff, v71, v64
	v_bfi_b32 v66, 0xffff, v94, v93
	v_mul_f16_e32 v51, 0x3bf7, v51
	v_pk_mul_f16 v58, 0x39e9bbdd, v50 op_sel_hi:[1,0]
	v_mul_f16_e32 v62, 0x2de8, v50
	v_pk_add_f16 v48, v54, v48
	v_pk_add_f16 v45, v46, v45
	v_perm_b32 v46, v56, v64, 0x5040100
	v_perm_b32 v44, v44, v93, 0x5040100
	v_add_f16_e32 v7, v7, v35
	v_pk_add_f16 v60, v101, v66
	v_bfi_b32 v55, 0xffff, v51, v59
	v_bfi_b32 v67, 0xffff, v62, v58
	v_pk_add_f16 v45, v48, v45
	v_pk_mul_f16 v48, 0xbbdd39e9, v53 op_sel_hi:[1,0]
	v_mul_f16_e32 v56, 0xb5c8, v63
	v_mul_f16_e32 v63, 0x3b76, v53
	v_pk_add_f16 v44, v46, v44
	v_mul_f16_e32 v46, 0x3722, v50
	v_add_f16_e32 v7, v7, v34
	v_pk_mul_f16 v104, 0xbacd3b76, v89
	v_pk_add_f16 v60, v92, v60
	v_pk_add_f16 v55, v55, v67
	v_bfi_b32 v50, 0xffff, v56, v49
	v_bfi_b32 v64, 0xffff, v63, v48
	v_perm_b32 v52, v52, v59, 0x5040100
	v_perm_b32 v46, v46, v58, 0x5040100
	v_add_f16_e32 v7, v7, v33
	v_pk_fma_f16 v99, 0xb836b5c8, v87, v104
	v_pk_mul_f16 v65, 0xb8d22de8, v91
	v_pk_add_f16 v55, v60, v55
	v_pk_add_f16 v50, v50, v64
	;; [unrolled: 1-line block ×4, first 2 shown]
	v_mul_f16_e32 v46, 0xb461, v53
	v_perm_b32 v47, v47, v49, 0x5040100
	v_pk_mul_f16 v49, 0xbbf7bb29, v74
	v_add_f16_e32 v7, v7, v32
	v_pk_add_f16 v66, v83, v99
	v_pk_fma_f16 v54, 0x3a62bbf7, v95, v65
	v_pk_add_f16 v50, v55, v50
	v_mul_f16_e32 v55, 0xba62, v57
	v_perm_b32 v46, v46, v48, 0x5040100
	v_pk_mul_f16 v48, 0xb1e1ba62, v77
	v_bfi_b32 v57, 0xffff, v100, v90
	v_pk_mul_f16 v58, 0x3bb231e1, v80
	v_bfi_b32 v49, 0xffff, v73, v49
	v_add_f16_e32 v7, v7, v28
	v_pk_add_f16 v54, v66, v54
	v_bfi_b32 v60, 0xffff, v103, v98
	v_bfi_b32 v48, 0xffff, v72, v48
	v_pk_add_f16 v49, v57, v49 neg_lo:[0,1] neg_hi:[0,1]
	v_bfi_b32 v66, 0xffff, v108, v106
	v_bfi_b32 v58, 0xffff, v70, v58
	v_add_f16_e32 v7, v7, v27
	v_pk_mul_f16 v59, 0x35c83bb2, v84
	v_pk_add_f16 v48, v60, v48 neg_lo:[0,1] neg_hi:[0,1]
	v_pk_add_f16 v49, v75, v49
	v_pk_add_f16 v58, v66, v58 neg_lo:[0,1] neg_hi:[0,1]
	v_pk_mul_f16 v66, 0x39643b29, v74
	v_add_f16_e32 v7, v7, v26
	v_bfi_b32 v73, 0xffff, v110, v105
	v_pk_add_f16 v48, v49, v48
	v_bfi_b32 v59, 0xffff, v69, v59
	v_pk_fma_f16 v6, 0x39e93722, v6, v66
	v_pk_mul_f16 v66, 0x3bf73a62, v77
	v_add_f16_e32 v7, v7, v29
	v_pk_mul_f16 v52, 0x3722b461, v61 op_sel_hi:[1,0]
	v_pk_add_f16 v44, v44, v45
	v_mul_f16_e32 v45, 0x2de8, v61
	v_mul_f16_e32 v53, 0xb8d2, v61
	v_pk_mul_f16 v61, 0xbb293964, v88
	v_pk_add_f16 v46, v47, v46
	v_pk_add_f16 v47, v48, v58
	v_pk_add_f16 v48, v73, v59 neg_lo:[0,1] neg_hi:[0,1]
	v_pk_add_f16 v6, v75, v6
	v_pk_fma_f16 v58, 0x2de8b8d2, v76, v66
	v_pk_mul_f16 v59, 0x3a62b1e1, v80
	v_add_f16_e32 v7, v7, v30
	v_pk_mul_f16 v64, 0xb836b5c8, v87
	v_bfi_b32 v66, 0xffff, v94, v111
	v_bfi_b32 v61, 0xffff, v71, v61
	v_pk_add_f16 v47, v47, v48
	v_pk_add_f16 v6, v6, v58
	v_pk_fma_f16 v48, 0xb8d2bbdd, v79, v59
	v_pk_mul_f16 v58, 0x31e1bbb2, v84
	v_add_f16_e32 v7, v31, v7
	v_pk_add_f16 v59, v66, v61 neg_lo:[0,1] neg_hi:[0,1]
	v_bfi_b32 v61, 0xffff, v62, v104
	v_bfi_b32 v51, 0xffff, v51, v64
	v_pk_add_f16 v6, v6, v48
	v_pk_fma_f16 v48, 0xbbddb461, v81, v58
	v_pk_mul_f16 v58, 0xb836b964, v88
	v_add_f16_e32 v7, v36, v7
	v_pk_mul_f16 v57, 0x3a62bbf7, v95
	v_bfi_b32 v72, 0xffff, v55, v42
	v_perm_b32 v42, v43, v42, 0x5040100
	v_pk_add_f16 v43, v47, v59
	v_pk_add_f16 v47, v61, v51 neg_lo:[0,1] neg_hi:[0,1]
	v_pk_add_f16 v6, v6, v48
	v_pk_fma_f16 v48, 0xbacd39e9, v85, v58
	v_pk_mul_f16 v51, 0xbbb235c8, v87
	v_add_f16_e32 v7, v37, v7
	v_pk_mul_f16 v60, 0x39e9bacd, v86
	v_pk_mul_f16 v68, 0x3964b836, v96
	v_bfi_b32 v58, 0xffff, v63, v65
	v_bfi_b32 v56, 0xffff, v56, v57
	v_pk_add_f16 v43, v43, v47
	v_pk_add_f16 v6, v6, v48
	v_pk_fma_f16 v47, 0xb4613b76, v89, v51
	v_pk_mul_f16 v48, 0xbb293bf7, v95
	v_add_f16_e32 v7, v38, v7
	v_bfi_b32 v74, 0xffff, v53, v52
	v_pk_add_f16 v51, v58, v56 neg_lo:[0,1] neg_hi:[0,1]
	v_bfi_b32 v53, 0xffff, v53, v60
	v_bfi_b32 v55, 0xffff, v55, v68
	v_pk_add_f16 v6, v6, v47
	v_pk_fma_f16 v47, 0x37222de8, v91, v48
	v_pk_mul_f16 v48, 0xb5c83836, v96
	v_add_f16_e32 v7, v39, v7
	v_perm_b32 v45, v45, v52, 0x5040100
	v_pk_add_f16 v43, v43, v51
	v_pk_add_f16 v51, v53, v55 neg_lo:[0,1] neg_hi:[0,1]
	v_pk_add_f16 v6, v6, v47
	v_pk_fma_f16 v47, 0x3b76bacd, v86, v48
	v_add_f16_e32 v7, v40, v7
	v_mul_u32_u24_e32 v67, 34, v4
	v_pk_fma_f16 v70, 0x35c8b1e1, v96, v97
	v_pk_fma_f16 v49, 0x3964b836, v96, v60
	v_pk_add_f16 v48, v72, v74
	v_pk_add_f16 v46, v44, v46
	;; [unrolled: 1-line block ×5, first 2 shown]
	v_add_f16_e32 v7, v41, v7
	v_add3_u32 v67, 0, v67, v0
	v_pk_add_f16 v42, v78, v70
	v_pk_add_f16 v43, v54, v49
	;; [unrolled: 1-line block ×4, first 2 shown]
	v_alignbit_b32 v48, v6, v51, 16
	v_alignbit_b32 v47, v51, v8, 16
	;; [unrolled: 1-line block ×3, first 2 shown]
	v_perm_b32 v46, v8, v5, 0x5040100
	ds_write_b16 v67, v7
	ds_write_b128 v67, v[42:45] offset:2
	ds_write_b128 v67, v[46:49] offset:18
.LBB0_14:
	s_or_b32 exec_lo, exec_lo, s0
	v_lshlrev_b32_e32 v6, 1, v4
	s_waitcnt lgkmcnt(0)
	s_barrier
	buffer_gl0_inv
	v_cmp_gt_u32_e64 s0, 34, v4
	v_add_nc_u32_e32 v51, 0, v6
	v_add3_u32 v7, 0, v0, v6
	v_add_nc_u32_e32 v6, v51, v0
	ds_read_u16 v42, v7
	ds_read_u16 v43, v6 offset:102
	ds_read_u16 v46, v6 offset:476
	;; [unrolled: 1-line block ×8, first 2 shown]
	s_and_saveexec_b32 s4, s0
	s_cbranch_execz .LBB0_16
; %bb.15:
	ds_read_u16 v8, v6 offset:680
	ds_read_u16 v5, v6 offset:306
	s_waitcnt lgkmcnt(1)
	ds_read_u16_d16_hi v8, v6 offset:1054
.LBB0_16:
	s_or_b32 exec_lo, exec_lo, s4
	v_sub_f16_e32 v63, v35, v41
	v_add_f16_e32 v65, v25, v9
	v_sub_f16_e32 v66, v34, v40
	v_add_f16_e32 v67, v24, v10
	v_sub_f16_e32 v69, v33, v39
	v_mul_f16_e32 v34, 0xb1e1, v63
	v_add_f16_e32 v68, v23, v12
	v_mul_f16_e32 v33, 0x35c8, v66
	v_sub_f16_e32 v57, v32, v38
	v_mul_f16_e32 v32, 0xb836, v69
	v_fmamk_f16 v35, v65, 0xbbdd, v34
	v_pk_mul_f16 v52, 0xba62b836, v63 op_sel_hi:[1,0]
	v_fmamk_f16 v38, v67, 0x3b76, v33
	v_add_f16_e32 v64, v22, v13
	v_pk_mul_f16 v39, 0x3bb23b29, v66 op_sel_hi:[1,0]
	v_add_f16_e32 v40, v11, v35
	v_mul_f16_e32 v35, 0x3964, v57
	v_fmamk_f16 v41, v68, 0xbacd, v32
	v_pk_fma_f16 v53, 0xb8d2bacd, v65, v52 op_sel_hi:[1,0,1]
	v_sub_f16_e32 v60, v28, v37
	v_add_f16_e32 v38, v40, v38
	v_fmamk_f16 v37, v64, 0x39e9, v35
	v_pk_fma_f16 v40, 0xb4613722, v67, v39 op_sel_hi:[1,0,1]
	v_pk_add_f16 v54, v11, v53 op_sel_hi:[0,1]
	v_pk_mul_f16 v53, 0xb5c8bbf7, v69 op_sel_hi:[1,0]
	v_add_f16_e32 v38, v38, v41
	v_add_f16_e32 v56, v21, v14
	v_sub_f16_e32 v59, v27, v36
	v_mul_f16_e32 v28, 0xba62, v60
	v_pk_add_f16 v27, v54, v40
	v_add_f16_e32 v37, v38, v37
	v_pk_fma_f16 v38, 0x3b762de8, v68, v53 op_sel_hi:[1,0,1]
	v_pk_mul_f16 v41, 0xb8363a62, v57 op_sel_hi:[1,0]
	v_fmamk_f16 v54, v56, 0xb8d2, v28
	v_add_f16_e32 v62, v20, v15
	v_mul_f16_e32 v36, 0x3b29, v59
	v_pk_add_f16 v27, v27, v38
	v_pk_fma_f16 v38, 0xbacdb8d2, v64, v41 op_sel_hi:[1,0,1]
	v_pk_mul_f16 v40, 0x3bf7b5c8, v60 op_sel_hi:[1,0]
	v_add_f16_e32 v37, v37, v54
	v_fmamk_f16 v54, v62, 0x3722, v36
	v_sub_f16_e32 v58, v26, v31
	v_pk_add_f16 v26, v27, v38
	v_pk_fma_f16 v27, 0x2de83b76, v56, v40 op_sel_hi:[1,0,1]
	v_pk_mul_f16 v38, 0xb964b1e1, v59 op_sel_hi:[1,0]
	v_add_f16_e32 v70, v37, v54
	v_add_f16_e32 v61, v19, v16
	v_mul_f16_e32 v31, 0xbbb2, v58
	v_pk_add_f16 v26, v26, v27
	v_pk_fma_f16 v27, 0x39e9bbdd, v62, v38 op_sel_hi:[1,0,1]
	v_pk_mul_f16 v37, 0xb1e13964, v58 op_sel_hi:[1,0]
	v_sub_f16_e32 v54, v29, v30
	v_fmamk_f16 v71, v61, 0xb461, v31
	v_add_f16_e32 v55, v18, v17
	v_pk_add_f16 v26, v26, v27
	v_pk_fma_f16 v27, 0xbbdd39e9, v61, v37 op_sel_hi:[1,0,1]
	v_pk_mul_f16 v29, 0x3b29bbb2, v54 op_sel_hi:[1,0]
	v_mul_f16_e32 v30, 0x3bf7, v54
	v_add_f16_e32 v70, v70, v71
	s_waitcnt lgkmcnt(0)
	v_pk_add_f16 v26, v26, v27
	v_pk_fma_f16 v27, 0x3722b461, v55, v29 op_sel_hi:[1,0,1]
	v_fmamk_f16 v71, v55, 0x2de8, v30
	s_barrier
	buffer_gl0_inv
	v_pk_add_f16 v27, v26, v27
	v_add_f16_e32 v26, v70, v71
	s_and_saveexec_b32 s4, s1
	s_cbranch_execz .LBB0_18
; %bb.17:
	v_add_f16_e32 v25, v11, v25
	v_mul_f16_e32 v72, 0xbacd, v68
	v_pack_b32_f16 v76, v65, v65
	v_pack_b32_f16 v79, v66, v66
	;; [unrolled: 1-line block ×3, first 2 shown]
	v_add_f16_e32 v24, v25, v24
	v_pk_mul_f16 v90, 0x3b762de8, v68 op_sel_hi:[1,0]
	v_mul_f16_e32 v73, 0x39e9, v64
	v_pack_b32_f16 v78, v67, v67
	v_pack_b32_f16 v81, v64, v64
	v_add_f16_e32 v23, v24, v23
	v_pack_b32_f16 v24, v63, v63
	v_pk_mul_f16 v91, 0xbacdb8d2, v64 op_sel_hi:[1,0]
	v_perm_b32 v77, v11, v11, 0x5040100
	v_pack_b32_f16 v82, v57, v57
	v_add_f16_e32 v22, v23, v22
	v_pack_b32_f16 v23, v68, v68
	v_pk_mul_f16 v95, 0xba62bb29, v80
	v_pack_b32_f16 v83, v60, v60
	v_pack_b32_f16 v85, v59, v59
	v_add_f16_e32 v21, v22, v21
	v_pack_b32_f16 v22, v56, v56
	v_pack_b32_f16 v84, v62, v62
	;; [unrolled: 1-line block ×3, first 2 shown]
	v_mul_f16_e32 v25, 0xb8d2, v56
	v_add_f16_e32 v20, v21, v20
	v_pack_b32_f16 v21, v61, v61
	v_pack_b32_f16 v87, v55, v55
	;; [unrolled: 1-line block ×3, first 2 shown]
	v_mul_f16_e32 v74, 0x3722, v62
	v_add_f16_e32 v19, v20, v19
	v_pk_mul_f16 v92, 0x39e9bbdd, v62 op_sel_hi:[1,0]
	v_mul_f16_e32 v70, 0xbbdd, v65
	v_pk_mul_f16 v20, 0xb8d2bacd, v65 op_sel_hi:[1,0]
	v_mul_f16_e32 v65, 0xb461, v65
	v_add_f16_e32 v18, v19, v18
	v_pk_mul_f16 v19, 0x2de83b76, v56 op_sel_hi:[1,0]
	v_mul_f16_e32 v63, 0xbbb2, v63
	v_pk_mul_f16 v98, 0xb461bbdd, v23
	v_mul_f16_e32 v71, 0x3b76, v67
	v_add_f16_e32 v17, v18, v17
	v_pk_mul_f16 v89, 0xb4613722, v67 op_sel_hi:[1,0]
	v_mul_f16_e32 v67, 0xbacd, v67
	v_pk_mul_f16 v99, 0x3b76b461, v81
	v_pk_mul_f16 v101, 0x3a62bbf7, v86
	v_add_f16_e32 v16, v16, v17
	v_mul_f16_e32 v17, 0x3836, v66
	v_mul_f16_e32 v66, 0x39e9, v68
	;; [unrolled: 1-line block ×3, first 2 shown]
	v_pk_mul_f16 v69, 0xb964b5c8, v24
	v_add_f16_e32 v15, v15, v16
	v_mul_f16_e32 v16, 0x3722, v64
	v_pk_mul_f16 v64, 0xbbf7b964, v79
	v_mul_f16_e32 v59, 0x3bf7, v59
	v_fmamk_f16 v96, v76, 0x3b76, v69
	v_add_f16_e32 v14, v14, v15
	v_pk_fma_f16 v69, 0x39e93b76, v76, v69 neg_lo:[0,0,1] neg_hi:[0,0,1]
	v_fmamk_f16 v97, v78, 0x39e9, v64
	v_pk_mul_f16 v15, 0xb1e1bbf7, v82
	v_add_f16_e32 v11, v11, v96
	v_add_f16_e32 v13, v13, v14
	v_pk_fma_f16 v14, 0x2de839e9, v78, v64 neg_lo:[0,0,1] neg_hi:[0,0,1]
	v_fmamk_f16 v64, v23, 0x3722, v95
	v_pk_add_f16 v69, v77, v69
	v_add_f16_e32 v11, v11, v97
	v_add_f16_e32 v12, v12, v13
	v_pk_fma_f16 v13, 0xb8d23722, v23, v95 neg_lo:[0,0,1] neg_hi:[0,0,1]
	v_fmamk_f16 v95, v81, 0x2de8, v15
	v_pk_add_f16 v14, v69, v14
	v_add_f16_e32 v11, v11, v64
	v_add_f16_e32 v10, v10, v12
	v_mul_f16_e32 v12, 0xbb29, v57
	v_pk_mul_f16 v57, 0x3836bbb2, v83
	v_pk_add_f16 v13, v14, v13
	v_add_f16_e32 v11, v11, v95
	v_add_f16_e32 v64, v9, v10
	v_pk_fma_f16 v9, 0xbbdd2de8, v81, v15 neg_lo:[0,0,1] neg_hi:[0,0,1]
	v_fmamk_f16 v10, v22, 0xb461, v57
	v_pk_mul_f16 v15, 0x3bb2ba62, v85
	v_mul_f16_e32 v14, 0xbbdd, v56
	v_mul_f16_e32 v56, 0xb1e1, v60
	v_pk_add_f16 v9, v13, v9
	v_add_f16_e32 v10, v11, v10
	v_pk_fma_f16 v11, 0xbacdb461, v22, v57 neg_lo:[0,0,1] neg_hi:[0,0,1]
	v_fmamk_f16 v13, v84, 0xb8d2, v15
	v_pk_mul_f16 v60, 0x3b29b836, v86
	v_mul_f16_e32 v57, 0x2de8, v62
	v_pk_mul_f16 v62, 0x3b76bbdd, v87
	v_pk_add_f16 v9, v9, v11
	v_pk_fma_f16 v11, 0xb461b8d2, v84, v15 neg_lo:[0,0,1] neg_hi:[0,0,1]
	v_add_f16_e32 v10, v10, v13
	v_fmamk_f16 v13, v21, 0xbacd, v60
	v_pk_fma_f16 v60, 0x3722bacd, v21, v60 neg_lo:[0,0,1] neg_hi:[0,0,1]
	v_pk_mul_f16 v69, 0x35c8b1e1, v88
	v_pk_add_f16 v9, v9, v11
	v_pk_mul_f16 v15, 0xbbf7bb29, v24
	v_add_f16_e32 v10, v10, v13
	v_pk_mul_f16 v24, 0xb964bb29, v24
	v_pk_mul_f16 v13, 0xb1e1ba62, v79
	v_pk_add_f16 v9, v9, v60
	v_add_f16_e32 v60, v62, v69
	v_pk_fma_f16 v11, 0x2de83722, v76, v15 neg_lo:[0,0,1] neg_hi:[0,0,1]
	v_pk_fma_f16 v24, 0x39e93722, v76, v24
	v_pk_fma_f16 v95, 0xbbddb8d2, v78, v13 neg_lo:[0,0,1] neg_hi:[0,0,1]
	v_pk_mul_f16 v96, 0x3bb231e1, v80
	v_add_f16_e32 v60, v10, v60
	v_pk_mul_f16 v10, 0x2de83722, v76
	v_pk_mul_f16 v76, 0xbbf7ba62, v79
	v_pk_add_f16 v11, v77, v11
	v_pk_mul_f16 v97, 0xbbddb8d2, v78
	v_pk_add_f16 v24, v77, v24
	v_pk_fma_f16 v62, 0x3b76bbdd, v87, v69 neg_lo:[0,0,1] neg_hi:[0,0,1]
	v_pk_fma_f16 v76, 0x2de8b8d2, v78, v76
	v_pk_mul_f16 v78, 0xba6231e1, v80
	v_pk_add_f16 v11, v11, v95
	v_pk_fma_f16 v69, 0xb461bbdd, v23, v96 neg_lo:[0,0,1] neg_hi:[0,0,1]
	v_pk_mul_f16 v95, 0x35c83bb2, v82
	v_pk_add_f16 v24, v24, v76
	v_pk_fma_f16 v23, 0xb8d2bbdd, v23, v78
	v_pk_mul_f16 v76, 0xb1e13bb2, v82
	v_pk_add_f16 v9, v9, v62
	v_pk_add_f16 v11, v11, v69
	v_pk_fma_f16 v62, 0x3b76b461, v81, v95 neg_lo:[0,0,1] neg_hi:[0,0,1]
	v_pk_mul_f16 v69, 0xbb293964, v83
	v_pk_add_f16 v23, v24, v23
	v_pk_fma_f16 v24, 0xbbddb461, v81, v76
	v_pk_mul_f16 v76, 0x38363964, v83
	v_bfi_b32 v10, 0xffff, v65, v10
	v_bfi_b32 v15, 0xffff, v63, v15
	v_pk_add_f16 v11, v11, v62
	v_pk_fma_f16 v62, 0x372239e9, v22, v69 neg_lo:[0,0,1] neg_hi:[0,0,1]
	v_pk_mul_f16 v79, 0x372239e9, v22
	v_pk_add_f16 v23, v23, v24
	v_pk_fma_f16 v22, 0xbacd39e9, v22, v76
	v_pk_mul_f16 v24, 0x3bb2b5c8, v85
	v_pk_add_f16 v10, v10, v15
	v_bfi_b32 v15, 0xffff, v67, v97
	v_bfi_b32 v13, 0xffff, v17, v13
	v_pk_add_f16 v22, v23, v22
	v_pk_fma_f16 v23, 0xb4613b76, v84, v24
	v_pk_mul_f16 v24, 0x3b29bbf7, v86
	v_pk_add_f16 v10, v77, v10
	v_pk_add_f16 v13, v15, v13
	v_bfi_b32 v15, 0xffff, v66, v98
	v_bfi_b32 v76, 0xffff, v68, v96
	v_pk_mul_f16 v78, 0xb8d22de8, v21
	v_pk_fma_f16 v82, 0xb8d22de8, v21, v101 neg_lo:[0,0,1] neg_hi:[0,0,1]
	v_pk_add_f16 v22, v22, v23
	v_pk_fma_f16 v21, 0x37222de8, v21, v24
	v_pk_mul_f16 v23, 0x35c8b836, v88
	v_pk_add_f16 v10, v10, v13
	v_pk_add_f16 v13, v15, v76
	v_bfi_b32 v15, 0xffff, v16, v99
	v_bfi_b32 v24, 0xffff, v12, v95
	v_pk_add_f16 v11, v11, v62
	v_pk_mul_f16 v62, 0xb836b5c8, v85
	v_pk_mul_f16 v80, 0xbacd3b76, v84
	v_pk_add_f16 v21, v22, v21
	v_pk_fma_f16 v22, 0x3b76bacd, v87, v23
	v_pk_add_f16 v10, v10, v13
	v_pk_add_f16 v13, v15, v24
	v_bfi_b32 v15, 0xffff, v14, v79
	v_bfi_b32 v23, 0xffff, v56, v69
	v_mul_f16_e32 v75, 0xb461, v61
	v_pk_mul_f16 v93, 0xbbdd39e9, v61 op_sel_hi:[1,0]
	v_mul_f16_e32 v61, 0x3b76, v61
	v_mul_f16_e32 v58, 0xb5c8, v58
	v_pk_add_f16 v21, v21, v22
	v_pk_add_f16 v10, v10, v13
	;; [unrolled: 1-line block ×3, first 2 shown]
	v_bfi_b32 v15, 0xffff, v57, v80
	v_bfi_b32 v22, 0xffff, v59, v62
	v_pk_mul_f16 v94, 0x3722b461, v55 op_sel_hi:[1,0]
	v_mul_f16_e32 v18, 0x2de8, v55
	v_pk_fma_f16 v100, 0xbacd3b76, v84, v62 neg_lo:[0,0,1] neg_hi:[0,0,1]
	v_mul_f16_e32 v23, 0xb8d2, v55
	v_bfi_b32 v55, 0xffff, v65, v20
	v_bfi_b32 v62, 0xffff, v63, v52
	v_pk_add_f16 v10, v10, v13
	v_pk_add_f16 v13, v15, v22
	v_bfi_b32 v15, 0xffff, v61, v78
	v_bfi_b32 v22, 0xffff, v58, v101
	v_pk_add_f16 v55, v55, v62 neg_lo:[0,1] neg_hi:[0,1]
	v_bfi_b32 v62, 0xffff, v67, v89
	v_bfi_b32 v17, 0xffff, v17, v39
	v_pk_add_f16 v10, v10, v13
	v_pk_add_f16 v13, v15, v22
	;; [unrolled: 1-line block ×3, first 2 shown]
	v_bfi_b32 v22, 0xffff, v66, v90
	v_pk_add_f16 v17, v62, v17 neg_lo:[0,1] neg_hi:[0,1]
	v_bfi_b32 v55, 0xffff, v68, v53
	v_pk_add_f16 v10, v10, v13
	v_perm_b32 v13, v70, v20, 0x5040100
	v_perm_b32 v20, v34, v52, 0x5040100
	v_pk_add_f16 v15, v15, v17
	v_pk_add_f16 v17, v22, v55 neg_lo:[0,1] neg_hi:[0,1]
	v_bfi_b32 v16, 0xffff, v16, v91
	v_bfi_b32 v12, 0xffff, v12, v41
	v_pk_add_f16 v13, v13, v20 neg_lo:[0,1] neg_hi:[0,1]
	v_perm_b32 v20, v71, v89, 0x5040100
	v_perm_b32 v22, v33, v39, 0x5040100
	v_pk_add_f16 v15, v15, v17
	v_pk_add_f16 v12, v16, v12 neg_lo:[0,1] neg_hi:[0,1]
	v_pk_add_f16 v13, v77, v13
	v_perm_b32 v17, v72, v90, 0x5040100
	v_pk_add_f16 v16, v20, v22 neg_lo:[0,1] neg_hi:[0,1]
	v_perm_b32 v20, v32, v53, 0x5040100
	v_pk_add_f16 v12, v15, v12
	v_bfi_b32 v14, 0xffff, v14, v19
	v_bfi_b32 v15, 0xffff, v56, v40
	v_pk_add_f16 v13, v13, v16
	v_pk_add_f16 v16, v17, v20 neg_lo:[0,1] neg_hi:[0,1]
	v_perm_b32 v17, v73, v91, 0x5040100
	v_perm_b32 v20, v35, v41, 0x5040100
	v_pk_add_f16 v14, v14, v15 neg_lo:[0,1] neg_hi:[0,1]
	v_bfi_b32 v15, 0xffff, v57, v92
	v_bfi_b32 v22, 0xffff, v59, v38
	v_pk_add_f16 v13, v13, v16
	v_pk_add_f16 v16, v17, v20 neg_lo:[0,1] neg_hi:[0,1]
	v_perm_b32 v17, v25, v19, 0x5040100
	v_perm_b32 v19, v28, v40, 0x5040100
	v_pk_add_f16 v12, v12, v14
	v_pk_add_f16 v14, v15, v22 neg_lo:[0,1] neg_hi:[0,1]
	v_pk_add_f16 v13, v13, v16
	v_perm_b32 v16, v74, v92, 0x5040100
	v_pk_add_f16 v15, v17, v19 neg_lo:[0,1] neg_hi:[0,1]
	v_perm_b32 v17, v36, v38, 0x5040100
	v_pk_mul_f16 v76, 0x3964b836, v88
	v_pk_mul_f16 v24, 0x39e9bacd, v87
	v_mul_f16_e32 v54, 0xba62, v54
	v_pk_add_f16 v13, v13, v15
	v_pk_add_f16 v15, v16, v17 neg_lo:[0,1] neg_hi:[0,1]
	v_perm_b32 v16, v75, v93, 0x5040100
	v_perm_b32 v17, v31, v37, 0x5040100
	v_pk_add_f16 v12, v12, v14
	v_bfi_b32 v14, 0xffff, v61, v93
	v_bfi_b32 v19, 0xffff, v58, v37
	;; [unrolled: 1-line block ×4, first 2 shown]
	v_pk_add_f16 v13, v13, v15
	v_pk_add_f16 v15, v16, v17 neg_lo:[0,1] neg_hi:[0,1]
	v_perm_b32 v16, v18, v94, 0x5040100
	v_perm_b32 v17, v30, v29, 0x5040100
	v_pk_add_f16 v11, v11, v100
	v_pk_add_f16 v14, v14, v19 neg_lo:[0,1] neg_hi:[0,1]
	v_bfi_b32 v19, 0xffff, v23, v94
	v_bfi_b32 v22, 0xffff, v54, v29
	v_pk_add_f16 v18, v24, v20
	v_pk_add_f16 v13, v13, v15
	v_pk_add_f16 v15, v16, v17 neg_lo:[0,1] neg_hi:[0,1]
	v_lshlrev_b32_e32 v16, 5, v4
	v_pk_add_f16 v11, v11, v82
	v_pk_fma_f16 v69, 0x39e9bacd, v87, v76 neg_lo:[0,0,1] neg_hi:[0,0,1]
	v_pk_add_f16 v12, v12, v14
	v_pk_add_f16 v14, v19, v22 neg_lo:[0,1] neg_hi:[0,1]
	v_pk_add_f16 v17, v10, v18
	v_add3_u32 v18, v51, v16, v0
	v_pk_add_f16 v10, v11, v69
	v_alignbit_b32 v16, v60, v21, 16
	v_pk_add_f16 v11, v12, v14
	v_pk_add_f16 v12, v13, v15
	v_alignbit_b32 v15, v21, v17, 16
	v_alignbit_b32 v14, v17, v27, 16
	v_perm_b32 v13, v27, v26, 0x5040100
	ds_write_b16 v18, v64
	ds_write_b128 v18, v[9:12] offset:2
	ds_write_b128 v18, v[13:16] offset:18
.LBB0_18:
	s_or_b32 exec_lo, exec_lo, s4
	s_waitcnt lgkmcnt(0)
	s_barrier
	buffer_gl0_inv
	ds_read_u16 v18, v7
	ds_read_u16 v19, v6 offset:102
	ds_read_u16 v10, v6 offset:476
	;; [unrolled: 1-line block ×8, first 2 shown]
	s_and_saveexec_b32 s1, s0
	s_cbranch_execz .LBB0_20
; %bb.19:
	ds_read_u16 v27, v6 offset:680
	ds_read_u16 v26, v6 offset:306
	s_waitcnt lgkmcnt(1)
	ds_read_u16_d16_hi v27, v6 offset:1054
.LBB0_20:
	s_or_b32 exec_lo, exec_lo, s1
	v_and_b32_e32 v15, 0xff, v4
	v_add_nc_u16 v16, v4, 51
	v_add_nc_u16 v17, v4, 0x66
	v_mov_b32_e32 v25, 3
	v_lshrrev_b32_e32 v41, 16, v8
	v_mul_lo_u16 v15, 0xf1, v15
	v_and_b32_e32 v21, 0xff, v16
	v_and_b32_e32 v23, 0xff, v17
	s_waitcnt lgkmcnt(0)
	v_lshrrev_b32_e32 v51, 16, v27
	v_lshrrev_b16 v22, 12, v15
	v_add_nc_u16 v15, v4, 0x99
	v_mul_lo_u16 v21, 0xf1, v21
	v_mul_lo_u16 v23, 0xf1, v23
	;; [unrolled: 1-line block ×3, first 2 shown]
	v_and_b32_e32 v28, 0xff, v15
	v_lshrrev_b16 v29, 12, v21
	v_and_b32_e32 v22, 0xffff, v22
	v_sub_nc_u16 v30, v4, v24
	v_mul_lo_u16 v21, 0xf1, v28
	v_lshrrev_b16 v28, 12, v23
	v_mul_lo_u16 v23, v29, 17
	v_lshlrev_b32_sdwa v24, v25, v30 dst_sel:DWORD dst_unused:UNUSED_PAD src0_sel:DWORD src1_sel:BYTE_0
	v_lshrrev_b16 v31, 12, v21
	v_mul_lo_u16 v21, v28, 17
	v_sub_nc_u16 v16, v16, v23
	v_and_b32_e32 v28, 0xffff, v28
	global_load_dwordx2 v[23:24], v24, s[8:9]
	v_mul_lo_u16 v32, v31, 17
	v_sub_nc_u16 v17, v17, v21
	v_lshlrev_b32_sdwa v33, v25, v16 dst_sel:DWORD dst_unused:UNUSED_PAD src0_sel:DWORD src1_sel:BYTE_0
	v_sub_nc_u16 v21, v15, v32
	v_lshlrev_b32_sdwa v15, v25, v17 dst_sel:DWORD dst_unused:UNUSED_PAD src0_sel:DWORD src1_sel:BYTE_0
	global_load_dwordx2 v[33:34], v33, s[8:9]
	v_mad_u32_u24 v32, 0x66, v28, 0
	v_lshlrev_b32_sdwa v25, v25, v21 dst_sel:DWORD dst_unused:UNUSED_PAD src0_sel:DWORD src1_sel:BYTE_0
	s_clause 0x1
	global_load_dwordx2 v[37:38], v15, s[8:9]
	global_load_dwordx2 v[39:40], v25, s[8:9]
	v_mov_b32_e32 v15, 1
	v_and_b32_e32 v25, 0xffff, v29
	v_mad_u32_u24 v29, 0x66, v22, 0
	v_and_b32_e32 v22, 0xffff, v31
	s_waitcnt vmcnt(0)
	v_lshlrev_b32_sdwa v30, v15, v30 dst_sel:DWORD dst_unused:UNUSED_PAD src0_sel:DWORD src1_sel:BYTE_0
	v_mad_u32_u24 v31, 0x66, v25, 0
	v_lshlrev_b32_sdwa v16, v15, v16 dst_sel:DWORD dst_unused:UNUSED_PAD src0_sel:DWORD src1_sel:BYTE_0
	v_lshlrev_b32_sdwa v36, v15, v17 dst_sel:DWORD dst_unused:UNUSED_PAD src0_sel:DWORD src1_sel:BYTE_0
	s_barrier
	v_add3_u32 v25, v29, v30, v0
	buffer_gl0_inv
	v_add3_u32 v28, v31, v16, v0
	v_add3_u32 v29, v32, v36, v0
	v_mul_f16_sdwa v16, v50, v23 dst_sel:DWORD dst_unused:UNUSED_PAD src0_sel:DWORD src1_sel:WORD_1
	v_mul_f16_sdwa v30, v49, v24 dst_sel:DWORD dst_unused:UNUSED_PAD src0_sel:DWORD src1_sel:WORD_1
	;; [unrolled: 1-line block ×4, first 2 shown]
	v_fma_f16 v36, v14, v23, -v16
	v_fma_f16 v16, v13, v24, -v30
	v_fmac_f16_e32 v17, v50, v23
	v_mul_f16_sdwa v13, v10, v33 dst_sel:DWORD dst_unused:UNUSED_PAD src0_sel:DWORD src1_sel:WORD_1
	v_mul_f16_sdwa v14, v9, v34 dst_sel:DWORD dst_unused:UNUSED_PAD src0_sel:DWORD src1_sel:WORD_1
	v_fmac_f16_e32 v35, v49, v24
	v_mul_f16_sdwa v30, v46, v33 dst_sel:DWORD dst_unused:UNUSED_PAD src0_sel:DWORD src1_sel:WORD_1
	v_mul_f16_sdwa v49, v45, v34 dst_sel:DWORD dst_unused:UNUSED_PAD src0_sel:DWORD src1_sel:WORD_1
	;; [unrolled: 3-line block ×3, first 2 shown]
	v_mul_f16_sdwa v32, v12, v38 dst_sel:DWORD dst_unused:UNUSED_PAD src0_sel:DWORD src1_sel:WORD_1
	v_mul_f16_sdwa v23, v27, v39 dst_sel:DWORD dst_unused:UNUSED_PAD src0_sel:DWORD src1_sel:WORD_1
	v_fmac_f16_e32 v14, v45, v34
	v_mul_f16_sdwa v52, v48, v38 dst_sel:DWORD dst_unused:UNUSED_PAD src0_sel:DWORD src1_sel:WORD_1
	v_mul_f16_sdwa v53, v8, v39 dst_sel:DWORD dst_unused:UNUSED_PAD src0_sel:DWORD src1_sel:WORD_1
	;; [unrolled: 1-line block ×4, first 2 shown]
	v_fma_f16 v10, v10, v33, -v30
	v_fma_f16 v33, v9, v34, -v49
	v_fmac_f16_e32 v31, v47, v37
	v_fma_f16 v9, v11, v37, -v50
	v_fmac_f16_e32 v32, v48, v38
	v_add_f16_e32 v11, v17, v35
	v_fmac_f16_e32 v23, v8, v39
	v_add_f16_e32 v8, v42, v17
	v_add_f16_e32 v37, v13, v14
	v_fma_f16 v34, v12, v38, -v52
	v_fma_f16 v30, v27, v39, -v53
	v_fmac_f16_e32 v24, v41, v40
	v_fma_f16 v27, v51, v40, -v54
	v_sub_f16_e32 v12, v36, v16
	v_fmac_f16_e32 v42, -0.5, v11
	v_add_f16_e32 v40, v31, v32
	v_add_f16_e32 v11, v43, v13
	;; [unrolled: 1-line block ×3, first 2 shown]
	v_sub_f16_e32 v38, v10, v33
	v_fmac_f16_e32 v43, -0.5, v37
	v_add_f16_e32 v39, v44, v31
	v_sub_f16_e32 v41, v9, v34
	v_fmamk_f16 v45, v12, 0xbaee, v42
	v_fmac_f16_e32 v44, -0.5, v40
	v_fmac_f16_e32 v42, 0x3aee, v12
	v_add_f16_e32 v11, v11, v14
	ds_write_b16 v25, v8
	v_fmamk_f16 v8, v38, 0xbaee, v43
	v_fmac_f16_e32 v43, 0x3aee, v38
	v_add_f16_e32 v12, v39, v32
	v_fmamk_f16 v37, v41, 0xbaee, v44
	v_fmac_f16_e32 v44, 0x3aee, v41
	ds_write_b16 v25, v45 offset:34
	ds_write_b16 v25, v42 offset:68
	ds_write_b16 v28, v11
	ds_write_b16 v28, v8 offset:34
	ds_write_b16 v28, v43 offset:68
	ds_write_b16 v29, v12
	ds_write_b16 v29, v37 offset:34
	ds_write_b16 v29, v44 offset:68
	s_and_saveexec_b32 s1, s0
	s_cbranch_execz .LBB0_22
; %bb.21:
	v_add_f16_e32 v8, v23, v24
	v_add_f16_e32 v12, v5, v23
	v_mad_u32_u24 v37, 0x66, v22, 0
	v_lshlrev_b32_sdwa v15, v15, v21 dst_sel:DWORD dst_unused:UNUSED_PAD src0_sel:DWORD src1_sel:BYTE_0
	v_sub_f16_e32 v11, v30, v27
	v_fma_f16 v5, -0.5, v8, v5
	v_add_f16_e32 v8, v12, v24
	v_add3_u32 v12, v37, v15, v0
	v_fmamk_f16 v15, v11, 0x3aee, v5
	v_fmac_f16_e32 v5, 0xbaee, v11
	ds_write_b16 v12, v8
	ds_write_b16 v12, v5 offset:34
	ds_write_b16 v12, v15 offset:68
.LBB0_22:
	s_or_b32 exec_lo, exec_lo, s1
	v_add_f16_e32 v5, v36, v16
	v_add_f16_e32 v8, v18, v36
	v_sub_f16_e32 v11, v17, v35
	v_add_f16_e32 v12, v10, v33
	v_add_f16_e32 v35, v19, v10
	v_fmac_f16_e32 v18, -0.5, v5
	v_add_f16_e32 v5, v9, v34
	v_add_f16_e32 v36, v8, v16
	v_fmac_f16_e32 v19, -0.5, v12
	v_sub_f16_e32 v38, v13, v14
	v_fmamk_f16 v37, v11, 0x3aee, v18
	v_fmac_f16_e32 v18, 0xbaee, v11
	v_add_f16_e32 v39, v20, v9
	v_fmac_f16_e32 v20, -0.5, v5
	s_waitcnt lgkmcnt(0)
	s_barrier
	buffer_gl0_inv
	ds_read_u16 v5, v7
	ds_read_u16 v14, v6 offset:102
	ds_read_u16 v13, v6 offset:204
	ds_read_u16 v11, v6 offset:306
	ds_read_u16 v10, v6 offset:408
	ds_read_u16 v8, v6 offset:510
	ds_read_u16 v9, v6 offset:612
	ds_read_u16 v12, v6 offset:714
	ds_read_u16 v15, v6 offset:816
	ds_read_u16 v16, v6 offset:918
	ds_read_u16 v17, v6 offset:1020
	v_sub_f16_e32 v31, v31, v32
	v_add_f16_e32 v32, v35, v33
	v_fmamk_f16 v33, v38, 0x3aee, v19
	v_fmac_f16_e32 v19, 0xbaee, v38
	v_add_f16_e32 v34, v39, v34
	v_fmamk_f16 v35, v31, 0x3aee, v20
	v_fmac_f16_e32 v20, 0xbaee, v31
	s_waitcnt lgkmcnt(0)
	s_barrier
	buffer_gl0_inv
	ds_write_b16 v25, v36
	ds_write_b16 v25, v37 offset:34
	ds_write_b16 v25, v18 offset:68
	ds_write_b16 v28, v32
	ds_write_b16 v28, v33 offset:34
	ds_write_b16 v28, v19 offset:68
	;; [unrolled: 3-line block ×3, first 2 shown]
	s_and_saveexec_b32 s1, s0
	s_cbranch_execz .LBB0_24
; %bb.23:
	v_mov_b32_e32 v18, 1
	v_add_f16_e32 v19, v30, v27
	v_add_f16_e32 v20, v26, v30
	v_mad_u32_u24 v22, 0x66, v22, 0
	v_sub_f16_e32 v23, v23, v24
	v_lshlrev_b32_sdwa v18, v18, v21 dst_sel:DWORD dst_unused:UNUSED_PAD src0_sel:DWORD src1_sel:BYTE_0
	v_fmac_f16_e32 v26, -0.5, v19
	v_add_f16_e32 v19, v20, v27
	v_add3_u32 v0, v22, v18, v0
	v_fmamk_f16 v18, v23, 0x3aee, v26
	v_fmamk_f16 v20, v23, 0xbaee, v26
	ds_write_b16 v0, v19
	ds_write_b16 v0, v18 offset:34
	ds_write_b16 v0, v20 offset:68
.LBB0_24:
	s_or_b32 exec_lo, exec_lo, s1
	s_waitcnt lgkmcnt(0)
	s_barrier
	buffer_gl0_inv
	s_and_saveexec_b32 s0, vcc_lo
	s_cbranch_execz .LBB0_26
; %bb.25:
	v_mul_u32_u24_e32 v0, 10, v4
	v_mov_b32_e32 v4, 0
	v_lshlrev_b32_e32 v0, 2, v0
	s_clause 0x2
	global_load_dwordx4 v[18:21], v0, s[8:9] offset:136
	global_load_dwordx2 v[26:27], v0, s[8:9] offset:168
	global_load_dwordx4 v[22:25], v0, s[8:9] offset:152
	ds_read_u16 v28, v6 offset:306
	ds_read_u16 v29, v6 offset:408
	;; [unrolled: 1-line block ×7, first 2 shown]
	ds_read_u16 v7, v7
	v_lshlrev_b64 v[0:1], 2, v[1:2]
	v_lshlrev_b64 v[2:3], 2, v[3:4]
	ds_read_u16 v4, v6 offset:1020
	ds_read_u16 v35, v6 offset:918
	;; [unrolled: 1-line block ×3, first 2 shown]
	v_add_co_u32 v0, vcc_lo, s2, v0
	v_add_co_ci_u32_e32 v1, vcc_lo, s3, v1, vcc_lo
	v_add_co_u32 v0, vcc_lo, v0, v2
	v_add_co_ci_u32_e32 v1, vcc_lo, v1, v3, vcc_lo
	s_waitcnt vmcnt(2)
	v_lshrrev_b32_e32 v2, 16, v18
	v_mul_f16_e32 v38, v14, v18
	s_waitcnt vmcnt(1)
	v_lshrrev_b32_e32 v40, 16, v27
	v_lshrrev_b32_e32 v3, 16, v19
	;; [unrolled: 1-line block ×3, first 2 shown]
	v_mul_f16_e32 v41, v17, v27
	v_mul_f16_e32 v42, v13, v19
	s_waitcnt vmcnt(0)
	v_lshrrev_b32_e32 v47, 16, v24
	s_waitcnt lgkmcnt(4)
	v_fmac_f16_e32 v38, v34, v2
	v_mul_f16_e32 v17, v17, v40
	v_mul_f16_e32 v2, v14, v2
	v_lshrrev_b32_e32 v36, 16, v20
	v_mul_f16_e32 v43, v16, v26
	v_lshrrev_b32_e32 v48, 16, v25
	v_mul_f16_e32 v51, v12, v24
	s_waitcnt lgkmcnt(2)
	v_fmac_f16_e32 v41, v4, v40
	v_fmac_f16_e32 v42, v33, v3
	v_mul_f16_e32 v14, v16, v39
	v_mul_f16_e32 v3, v13, v3
	;; [unrolled: 1-line block ×3, first 2 shown]
	v_fma_f16 v4, v4, v27, -v17
	v_fma_f16 v2, v34, v18, -v2
	v_lshrrev_b32_e32 v37, 16, v21
	v_mul_f16_e32 v44, v11, v20
	v_lshrrev_b32_e32 v45, 16, v22
	v_lshrrev_b32_e32 v46, 16, v23
	v_mul_f16_e32 v49, v15, v25
	v_mul_f16_e32 v50, v10, v21
	;; [unrolled: 1-line block ×4, first 2 shown]
	s_waitcnt lgkmcnt(1)
	v_fmac_f16_e32 v43, v35, v39
	v_mul_f16_e32 v13, v15, v48
	v_mul_f16_e32 v11, v11, v36
	v_sub_f16_e32 v15, v38, v41
	v_fma_f16 v14, v35, v26, -v14
	v_fma_f16 v3, v33, v19, -v3
	;; [unrolled: 1-line block ×3, first 2 shown]
	v_add_f16_e32 v24, v5, v38
	v_add_f16_e32 v26, v2, v4
	v_sub_f16_e32 v35, v2, v4
	v_add_f16_e32 v2, v2, v7
	v_fmac_f16_e32 v44, v28, v36
	s_waitcnt lgkmcnt(0)
	v_fmac_f16_e32 v49, v6, v48
	v_fmac_f16_e32 v50, v29, v37
	;; [unrolled: 1-line block ×3, first 2 shown]
	v_mul_f16_e32 v10, v10, v37
	v_fmac_f16_e32 v52, v30, v45
	v_fmac_f16_e32 v53, v32, v46
	v_mul_f16_e32 v9, v9, v46
	v_mul_f16_e32 v8, v8, v45
	v_sub_f16_e32 v16, v42, v43
	v_fma_f16 v6, v6, v25, -v13
	v_fma_f16 v11, v28, v20, -v11
	v_mul_f16_e32 v25, 0xbbeb, v15
	v_mul_f16_e32 v40, 0xba0c, v15
	v_mul_f16_e32 v54, 0xb482, v15
	v_add_f16_e32 v24, v24, v42
	v_add_f16_e32 v2, v2, v3
	v_sub_f16_e32 v17, v44, v49
	v_sub_f16_e32 v13, v50, v51
	v_fma_f16 v10, v29, v21, -v10
	v_sub_f16_e32 v18, v52, v53
	v_fma_f16 v9, v32, v23, -v9
	v_fma_f16 v8, v30, v22, -v8
	v_add_f16_e32 v19, v38, v41
	v_add_f16_e32 v20, v42, v43
	v_mul_f16_e32 v27, 0x3482, v16
	v_add_f16_e32 v28, v3, v14
	v_sub_f16_e32 v36, v3, v14
	v_mul_f16_e32 v45, 0x3beb, v16
	v_mul_f16_e32 v55, 0x3853, v16
	v_fmamk_f16 v42, v26, 0xb08e, v25
	v_mul_f16_e32 v63, 0xbbeb, v35
	v_fmamk_f16 v68, v26, 0xb93d, v40
	v_mul_f16_e32 v73, 0xba0c, v35
	v_fmamk_f16 v78, v26, 0xbbad, v54
	v_mul_f16_e32 v83, 0xb482, v35
	v_fma_f16 v54, v26, 0xbbad, -v54
	v_fma_f16 v40, v26, 0xb93d, -v40
	;; [unrolled: 1-line block ×3, first 2 shown]
	v_mul_f16_e32 v88, 0x36a6, v26
	v_mul_f16_e32 v93, 0xbb47, v35
	;; [unrolled: 1-line block ×4, first 2 shown]
	v_add_f16_e32 v24, v24, v44
	v_add_f16_e32 v2, v2, v11
	v_mul_f16_e32 v29, 0x3b47, v17
	v_add_f16_e32 v30, v11, v6
	v_mul_f16_e32 v31, 0xb853, v13
	;; [unrolled: 2-line block ×3, first 2 shown]
	v_add_f16_e32 v34, v8, v9
	v_sub_f16_e32 v37, v11, v6
	v_sub_f16_e32 v38, v10, v12
	;; [unrolled: 1-line block ×3, first 2 shown]
	v_mul_f16_e32 v46, 0xb853, v17
	v_mul_f16_e32 v47, 0xb482, v13
	;; [unrolled: 1-line block ×6, first 2 shown]
	v_fmamk_f16 v59, v28, 0xbbad, v27
	v_mul_f16_e32 v64, 0x3482, v36
	v_fmamk_f16 v69, v28, 0xb08e, v45
	v_mul_f16_e32 v74, 0x3beb, v36
	;; [unrolled: 2-line block ×3, first 2 shown]
	v_fma_f16 v55, v28, 0x3abb, -v55
	v_fma_f16 v45, v28, 0xb08e, -v45
	;; [unrolled: 1-line block ×3, first 2 shown]
	v_mul_f16_e32 v89, 0xb93d, v28
	v_mul_f16_e32 v94, 0xba0c, v36
	;; [unrolled: 1-line block ×4, first 2 shown]
	v_fmamk_f16 v111, v15, 0x3b47, v88
	v_fmamk_f16 v121, v15, 0x3853, v26
	v_add_f16_e32 v24, v24, v50
	v_fmac_f16_e32 v88, 0xbb47, v15
	v_fmac_f16_e32 v26, 0xb853, v15
	v_fmamk_f16 v15, v19, 0x3abb, v35
	v_add_f16_e32 v2, v2, v10
	v_add_f16_e32 v21, v44, v49
	;; [unrolled: 1-line block ×4, first 2 shown]
	v_fmamk_f16 v60, v30, 0x36a6, v29
	v_fmamk_f16 v61, v32, 0x3abb, v31
	v_fmamk_f16 v62, v34, 0xb93d, v33
	v_mul_f16_e32 v65, 0x3b47, v37
	v_mul_f16_e32 v66, 0xb853, v38
	v_mul_f16_e32 v67, 0xba0c, v39
	v_fmamk_f16 v70, v30, 0x3abb, v46
	v_fmamk_f16 v71, v32, 0xbbad, v47
	v_fmamk_f16 v72, v34, 0x36a6, v48
	v_mul_f16_e32 v75, 0xb853, v37
	v_mul_f16_e32 v76, 0xb482, v38
	v_mul_f16_e32 v77, 0x3b47, v39
	;; [unrolled: 6-line block ×3, first 2 shown]
	v_fma_f16 v56, v30, 0xb93d, -v56
	v_fma_f16 v57, v32, 0x36a6, -v57
	;; [unrolled: 1-line block ×9, first 2 shown]
	v_mul_f16_e32 v90, 0xbbad, v30
	v_mul_f16_e32 v91, 0xb08e, v32
	;; [unrolled: 1-line block ×12, first 2 shown]
	v_add_f16_e32 v3, v7, v42
	v_fma_f16 v42, v19, 0xb08e, -v63
	v_add_f16_e32 v68, v7, v68
	v_fma_f16 v101, v19, 0xb93d, -v73
	;; [unrolled: 2-line block ×3, first 2 shown]
	v_add_f16_e32 v54, v7, v54
	v_fmac_f16_e32 v83, 0xbbad, v19
	v_add_f16_e32 v40, v7, v40
	v_fmac_f16_e32 v73, 0xb93d, v19
	;; [unrolled: 2-line block ×3, first 2 shown]
	v_fmamk_f16 v116, v19, 0x36a6, v93
	v_fma_f16 v93, v19, 0x36a6, -v93
	v_fmamk_f16 v112, v16, 0x3a0c, v89
	v_fmamk_f16 v122, v16, 0x3b47, v28
	v_fmac_f16_e32 v89, 0xba0c, v16
	v_fmac_f16_e32 v28, 0xbb47, v16
	v_fmamk_f16 v16, v20, 0x36a6, v36
	v_add_f16_e32 v15, v5, v15
	v_add_f16_e32 v24, v24, v52
	;; [unrolled: 1-line block ×3, first 2 shown]
	v_fma_f16 v44, v20, 0xbbad, -v64
	v_fma_f16 v98, v21, 0x36a6, -v65
	;; [unrolled: 1-line block ×12, first 2 shown]
	v_fmac_f16_e32 v84, 0x3abb, v20
	v_fmac_f16_e32 v85, 0xb93d, v21
	;; [unrolled: 1-line block ×12, first 2 shown]
	v_fmamk_f16 v113, v17, 0xb482, v90
	v_fmamk_f16 v114, v13, 0xbbeb, v91
	v_fmamk_f16 v115, v18, 0xb853, v92
	v_fmamk_f16 v117, v20, 0xb93d, v94
	v_fmamk_f16 v118, v21, 0xbbad, v95
	v_fmamk_f16 v119, v22, 0xb08e, v96
	v_fmamk_f16 v120, v23, 0x3abb, v97
	v_fmamk_f16 v123, v17, 0x3beb, v30
	v_fmamk_f16 v50, v13, 0x3a0c, v32
	v_fmamk_f16 v11, v18, 0x3482, v34
	v_fmac_f16_e32 v90, 0x3482, v17
	v_fmac_f16_e32 v30, 0xbbeb, v17
	v_fmamk_f16 v17, v21, 0xb08e, v37
	v_fmac_f16_e32 v91, 0x3beb, v13
	v_fmac_f16_e32 v32, 0xba0c, v13
	v_fmamk_f16 v13, v22, 0xb93d, v38
	;; [unrolled: 3-line block ×3, first 2 shown]
	v_fma_f16 v94, v20, 0xb93d, -v94
	v_fma_f16 v95, v21, 0xbbad, -v95
	;; [unrolled: 1-line block ×9, first 2 shown]
	v_add_f16_e32 v35, v5, v42
	v_add_f16_e32 v36, v68, v69
	;; [unrolled: 1-line block ×103, first 2 shown]
	v_pack_b32_f16 v11, v13, v11
	v_pack_b32_f16 v16, v16, v20
	;; [unrolled: 1-line block ×11, first 2 shown]
	global_store_dword v[0:1], v11, off offset:204
	global_store_dword v[0:1], v13, off offset:408
	;; [unrolled: 1-line block ×9, first 2 shown]
	global_store_dword v[0:1], v2, off
	global_store_dword v[0:1], v5, off offset:2040
.LBB0_26:
	s_endpgm
	.section	.rodata,"a",@progbits
	.p2align	6, 0x0
	.amdhsa_kernel fft_rtc_back_len561_factors_17_3_11_wgs_255_tpt_51_halfLds_half_ip_CI_unitstride_sbrr_dirReg
		.amdhsa_group_segment_fixed_size 0
		.amdhsa_private_segment_fixed_size 0
		.amdhsa_kernarg_size 88
		.amdhsa_user_sgpr_count 6
		.amdhsa_user_sgpr_private_segment_buffer 1
		.amdhsa_user_sgpr_dispatch_ptr 0
		.amdhsa_user_sgpr_queue_ptr 0
		.amdhsa_user_sgpr_kernarg_segment_ptr 1
		.amdhsa_user_sgpr_dispatch_id 0
		.amdhsa_user_sgpr_flat_scratch_init 0
		.amdhsa_user_sgpr_private_segment_size 0
		.amdhsa_wavefront_size32 1
		.amdhsa_uses_dynamic_stack 0
		.amdhsa_system_sgpr_private_segment_wavefront_offset 0
		.amdhsa_system_sgpr_workgroup_id_x 1
		.amdhsa_system_sgpr_workgroup_id_y 0
		.amdhsa_system_sgpr_workgroup_id_z 0
		.amdhsa_system_sgpr_workgroup_info 0
		.amdhsa_system_vgpr_workitem_id 0
		.amdhsa_next_free_vgpr 124
		.amdhsa_next_free_sgpr 21
		.amdhsa_reserve_vcc 1
		.amdhsa_reserve_flat_scratch 0
		.amdhsa_float_round_mode_32 0
		.amdhsa_float_round_mode_16_64 0
		.amdhsa_float_denorm_mode_32 3
		.amdhsa_float_denorm_mode_16_64 3
		.amdhsa_dx10_clamp 1
		.amdhsa_ieee_mode 1
		.amdhsa_fp16_overflow 0
		.amdhsa_workgroup_processor_mode 1
		.amdhsa_memory_ordered 1
		.amdhsa_forward_progress 0
		.amdhsa_shared_vgpr_count 0
		.amdhsa_exception_fp_ieee_invalid_op 0
		.amdhsa_exception_fp_denorm_src 0
		.amdhsa_exception_fp_ieee_div_zero 0
		.amdhsa_exception_fp_ieee_overflow 0
		.amdhsa_exception_fp_ieee_underflow 0
		.amdhsa_exception_fp_ieee_inexact 0
		.amdhsa_exception_int_div_zero 0
	.end_amdhsa_kernel
	.text
.Lfunc_end0:
	.size	fft_rtc_back_len561_factors_17_3_11_wgs_255_tpt_51_halfLds_half_ip_CI_unitstride_sbrr_dirReg, .Lfunc_end0-fft_rtc_back_len561_factors_17_3_11_wgs_255_tpt_51_halfLds_half_ip_CI_unitstride_sbrr_dirReg
                                        ; -- End function
	.section	.AMDGPU.csdata,"",@progbits
; Kernel info:
; codeLenInByte = 11788
; NumSgprs: 23
; NumVgprs: 124
; ScratchSize: 0
; MemoryBound: 0
; FloatMode: 240
; IeeeMode: 1
; LDSByteSize: 0 bytes/workgroup (compile time only)
; SGPRBlocks: 2
; VGPRBlocks: 15
; NumSGPRsForWavesPerEU: 23
; NumVGPRsForWavesPerEU: 124
; Occupancy: 8
; WaveLimiterHint : 1
; COMPUTE_PGM_RSRC2:SCRATCH_EN: 0
; COMPUTE_PGM_RSRC2:USER_SGPR: 6
; COMPUTE_PGM_RSRC2:TRAP_HANDLER: 0
; COMPUTE_PGM_RSRC2:TGID_X_EN: 1
; COMPUTE_PGM_RSRC2:TGID_Y_EN: 0
; COMPUTE_PGM_RSRC2:TGID_Z_EN: 0
; COMPUTE_PGM_RSRC2:TIDIG_COMP_CNT: 0
	.text
	.p2alignl 6, 3214868480
	.fill 48, 4, 3214868480
	.type	__hip_cuid_b79a00c3b7b2560b,@object ; @__hip_cuid_b79a00c3b7b2560b
	.section	.bss,"aw",@nobits
	.globl	__hip_cuid_b79a00c3b7b2560b
__hip_cuid_b79a00c3b7b2560b:
	.byte	0                               ; 0x0
	.size	__hip_cuid_b79a00c3b7b2560b, 1

	.ident	"AMD clang version 19.0.0git (https://github.com/RadeonOpenCompute/llvm-project roc-6.4.0 25133 c7fe45cf4b819c5991fe208aaa96edf142730f1d)"
	.section	".note.GNU-stack","",@progbits
	.addrsig
	.addrsig_sym __hip_cuid_b79a00c3b7b2560b
	.amdgpu_metadata
---
amdhsa.kernels:
  - .args:
      - .actual_access:  read_only
        .address_space:  global
        .offset:         0
        .size:           8
        .value_kind:     global_buffer
      - .offset:         8
        .size:           8
        .value_kind:     by_value
      - .actual_access:  read_only
        .address_space:  global
        .offset:         16
        .size:           8
        .value_kind:     global_buffer
      - .actual_access:  read_only
        .address_space:  global
        .offset:         24
        .size:           8
        .value_kind:     global_buffer
      - .offset:         32
        .size:           8
        .value_kind:     by_value
      - .actual_access:  read_only
        .address_space:  global
        .offset:         40
        .size:           8
        .value_kind:     global_buffer
      - .actual_access:  read_only
        .address_space:  global
        .offset:         48
        .size:           8
        .value_kind:     global_buffer
      - .offset:         56
        .size:           4
        .value_kind:     by_value
      - .actual_access:  read_only
        .address_space:  global
        .offset:         64
        .size:           8
        .value_kind:     global_buffer
      - .actual_access:  read_only
        .address_space:  global
        .offset:         72
        .size:           8
        .value_kind:     global_buffer
      - .address_space:  global
        .offset:         80
        .size:           8
        .value_kind:     global_buffer
    .group_segment_fixed_size: 0
    .kernarg_segment_align: 8
    .kernarg_segment_size: 88
    .language:       OpenCL C
    .language_version:
      - 2
      - 0
    .max_flat_workgroup_size: 255
    .name:           fft_rtc_back_len561_factors_17_3_11_wgs_255_tpt_51_halfLds_half_ip_CI_unitstride_sbrr_dirReg
    .private_segment_fixed_size: 0
    .sgpr_count:     23
    .sgpr_spill_count: 0
    .symbol:         fft_rtc_back_len561_factors_17_3_11_wgs_255_tpt_51_halfLds_half_ip_CI_unitstride_sbrr_dirReg.kd
    .uniform_work_group_size: 1
    .uses_dynamic_stack: false
    .vgpr_count:     124
    .vgpr_spill_count: 0
    .wavefront_size: 32
    .workgroup_processor_mode: 1
amdhsa.target:   amdgcn-amd-amdhsa--gfx1030
amdhsa.version:
  - 1
  - 2
...

	.end_amdgpu_metadata
